;; amdgpu-corpus repo=ROCm/rocFFT kind=compiled arch=gfx906 opt=O3
	.text
	.amdgcn_target "amdgcn-amd-amdhsa--gfx906"
	.amdhsa_code_object_version 6
	.protected	fft_rtc_fwd_len1280_factors_16_5_16_wgs_80_tpt_80_halfLds_half_op_CI_CI_sbrr_dirReg ; -- Begin function fft_rtc_fwd_len1280_factors_16_5_16_wgs_80_tpt_80_halfLds_half_op_CI_CI_sbrr_dirReg
	.globl	fft_rtc_fwd_len1280_factors_16_5_16_wgs_80_tpt_80_halfLds_half_op_CI_CI_sbrr_dirReg
	.p2align	8
	.type	fft_rtc_fwd_len1280_factors_16_5_16_wgs_80_tpt_80_halfLds_half_op_CI_CI_sbrr_dirReg,@function
fft_rtc_fwd_len1280_factors_16_5_16_wgs_80_tpt_80_halfLds_half_op_CI_CI_sbrr_dirReg: ; @fft_rtc_fwd_len1280_factors_16_5_16_wgs_80_tpt_80_halfLds_half_op_CI_CI_sbrr_dirReg
; %bb.0:
	s_load_dwordx4 s[16:19], s[4:5], 0x18
	s_load_dwordx4 s[12:15], s[4:5], 0x0
	;; [unrolled: 1-line block ×3, first 2 shown]
	v_mul_u32_u24_e32 v1, 0x334, v0
	v_mov_b32_e32 v7, 0
	s_waitcnt lgkmcnt(0)
	s_load_dwordx2 s[20:21], s[16:17], 0x0
	s_load_dwordx2 s[2:3], s[18:19], 0x0
	v_cmp_lt_u64_e64 s[0:1], s[14:15], 2
	v_mov_b32_e32 v5, 0
	v_add_u32_sdwa v9, s6, v1 dst_sel:DWORD dst_unused:UNUSED_PAD src0_sel:DWORD src1_sel:WORD_1
	v_mov_b32_e32 v10, v7
	s_and_b64 vcc, exec, s[0:1]
	v_mov_b32_e32 v6, 0
	s_cbranch_vccnz .LBB0_8
; %bb.1:
	s_load_dwordx2 s[0:1], s[4:5], 0x10
	s_add_u32 s6, s18, 8
	s_addc_u32 s7, s19, 0
	s_add_u32 s22, s16, 8
	s_addc_u32 s23, s17, 0
	v_mov_b32_e32 v5, 0
	s_waitcnt lgkmcnt(0)
	s_add_u32 s24, s0, 8
	v_mov_b32_e32 v6, 0
	v_mov_b32_e32 v1, v5
	s_addc_u32 s25, s1, 0
	s_mov_b64 s[26:27], 1
	v_mov_b32_e32 v2, v6
.LBB0_2:                                ; =>This Inner Loop Header: Depth=1
	s_load_dwordx2 s[28:29], s[24:25], 0x0
                                        ; implicit-def: $vgpr3_vgpr4
	s_waitcnt lgkmcnt(0)
	v_or_b32_e32 v8, s29, v10
	v_cmp_ne_u64_e32 vcc, 0, v[7:8]
	s_and_saveexec_b64 s[0:1], vcc
	s_xor_b64 s[30:31], exec, s[0:1]
	s_cbranch_execz .LBB0_4
; %bb.3:                                ;   in Loop: Header=BB0_2 Depth=1
	v_cvt_f32_u32_e32 v3, s28
	v_cvt_f32_u32_e32 v4, s29
	s_sub_u32 s0, 0, s28
	s_subb_u32 s1, 0, s29
	v_mac_f32_e32 v3, 0x4f800000, v4
	v_rcp_f32_e32 v3, v3
	v_mul_f32_e32 v3, 0x5f7ffffc, v3
	v_mul_f32_e32 v4, 0x2f800000, v3
	v_trunc_f32_e32 v4, v4
	v_mac_f32_e32 v3, 0xcf800000, v4
	v_cvt_u32_f32_e32 v4, v4
	v_cvt_u32_f32_e32 v3, v3
	v_mul_lo_u32 v8, s0, v4
	v_mul_hi_u32 v11, s0, v3
	v_mul_lo_u32 v13, s1, v3
	v_mul_lo_u32 v12, s0, v3
	v_add_u32_e32 v8, v11, v8
	v_add_u32_e32 v8, v8, v13
	v_mul_hi_u32 v11, v3, v12
	v_mul_lo_u32 v13, v3, v8
	v_mul_hi_u32 v15, v3, v8
	v_mul_hi_u32 v14, v4, v12
	v_mul_lo_u32 v12, v4, v12
	v_mul_hi_u32 v16, v4, v8
	v_add_co_u32_e32 v11, vcc, v11, v13
	v_addc_co_u32_e32 v13, vcc, 0, v15, vcc
	v_mul_lo_u32 v8, v4, v8
	v_add_co_u32_e32 v11, vcc, v11, v12
	v_addc_co_u32_e32 v11, vcc, v13, v14, vcc
	v_addc_co_u32_e32 v12, vcc, 0, v16, vcc
	v_add_co_u32_e32 v8, vcc, v11, v8
	v_addc_co_u32_e32 v11, vcc, 0, v12, vcc
	v_add_co_u32_e32 v3, vcc, v3, v8
	v_addc_co_u32_e32 v4, vcc, v4, v11, vcc
	v_mul_lo_u32 v8, s0, v4
	v_mul_hi_u32 v11, s0, v3
	v_mul_lo_u32 v12, s1, v3
	v_mul_lo_u32 v13, s0, v3
	v_add_u32_e32 v8, v11, v8
	v_add_u32_e32 v8, v8, v12
	v_mul_lo_u32 v14, v3, v8
	v_mul_hi_u32 v15, v3, v13
	v_mul_hi_u32 v16, v3, v8
	;; [unrolled: 1-line block ×3, first 2 shown]
	v_mul_lo_u32 v13, v4, v13
	v_mul_hi_u32 v11, v4, v8
	v_add_co_u32_e32 v14, vcc, v15, v14
	v_addc_co_u32_e32 v15, vcc, 0, v16, vcc
	v_mul_lo_u32 v8, v4, v8
	v_add_co_u32_e32 v13, vcc, v14, v13
	v_addc_co_u32_e32 v12, vcc, v15, v12, vcc
	v_addc_co_u32_e32 v11, vcc, 0, v11, vcc
	v_add_co_u32_e32 v8, vcc, v12, v8
	v_addc_co_u32_e32 v11, vcc, 0, v11, vcc
	v_add_co_u32_e32 v8, vcc, v3, v8
	v_addc_co_u32_e32 v11, vcc, v4, v11, vcc
	v_mad_u64_u32 v[3:4], s[0:1], v9, v11, 0
	v_mul_hi_u32 v12, v9, v8
	v_add_co_u32_e32 v13, vcc, v12, v3
	v_addc_co_u32_e32 v14, vcc, 0, v4, vcc
	v_mad_u64_u32 v[3:4], s[0:1], v10, v8, 0
	v_mad_u64_u32 v[11:12], s[0:1], v10, v11, 0
	v_add_co_u32_e32 v3, vcc, v13, v3
	v_addc_co_u32_e32 v3, vcc, v14, v4, vcc
	v_addc_co_u32_e32 v4, vcc, 0, v12, vcc
	v_add_co_u32_e32 v8, vcc, v3, v11
	v_addc_co_u32_e32 v11, vcc, 0, v4, vcc
	v_mul_lo_u32 v12, s29, v8
	v_mul_lo_u32 v13, s28, v11
	v_mad_u64_u32 v[3:4], s[0:1], s28, v8, 0
	v_add3_u32 v4, v4, v13, v12
	v_sub_u32_e32 v12, v10, v4
	v_mov_b32_e32 v13, s29
	v_sub_co_u32_e32 v3, vcc, v9, v3
	v_subb_co_u32_e64 v12, s[0:1], v12, v13, vcc
	v_subrev_co_u32_e64 v13, s[0:1], s28, v3
	v_subbrev_co_u32_e64 v12, s[0:1], 0, v12, s[0:1]
	v_cmp_le_u32_e64 s[0:1], s29, v12
	v_cndmask_b32_e64 v14, 0, -1, s[0:1]
	v_cmp_le_u32_e64 s[0:1], s28, v13
	v_cndmask_b32_e64 v13, 0, -1, s[0:1]
	v_cmp_eq_u32_e64 s[0:1], s29, v12
	v_cndmask_b32_e64 v12, v14, v13, s[0:1]
	v_add_co_u32_e64 v13, s[0:1], 2, v8
	v_addc_co_u32_e64 v14, s[0:1], 0, v11, s[0:1]
	v_add_co_u32_e64 v15, s[0:1], 1, v8
	v_addc_co_u32_e64 v16, s[0:1], 0, v11, s[0:1]
	v_subb_co_u32_e32 v4, vcc, v10, v4, vcc
	v_cmp_ne_u32_e64 s[0:1], 0, v12
	v_cmp_le_u32_e32 vcc, s29, v4
	v_cndmask_b32_e64 v12, v16, v14, s[0:1]
	v_cndmask_b32_e64 v14, 0, -1, vcc
	v_cmp_le_u32_e32 vcc, s28, v3
	v_cndmask_b32_e64 v3, 0, -1, vcc
	v_cmp_eq_u32_e32 vcc, s29, v4
	v_cndmask_b32_e32 v3, v14, v3, vcc
	v_cmp_ne_u32_e32 vcc, 0, v3
	v_cndmask_b32_e64 v3, v15, v13, s[0:1]
	v_cndmask_b32_e32 v4, v11, v12, vcc
	v_cndmask_b32_e32 v3, v8, v3, vcc
.LBB0_4:                                ;   in Loop: Header=BB0_2 Depth=1
	s_andn2_saveexec_b64 s[0:1], s[30:31]
	s_cbranch_execz .LBB0_6
; %bb.5:                                ;   in Loop: Header=BB0_2 Depth=1
	v_cvt_f32_u32_e32 v3, s28
	s_sub_i32 s30, 0, s28
	v_rcp_iflag_f32_e32 v3, v3
	v_mul_f32_e32 v3, 0x4f7ffffe, v3
	v_cvt_u32_f32_e32 v3, v3
	v_mul_lo_u32 v4, s30, v3
	v_mul_hi_u32 v4, v3, v4
	v_add_u32_e32 v3, v3, v4
	v_mul_hi_u32 v3, v9, v3
	v_mul_lo_u32 v4, v3, s28
	v_add_u32_e32 v8, 1, v3
	v_sub_u32_e32 v4, v9, v4
	v_subrev_u32_e32 v11, s28, v4
	v_cmp_le_u32_e32 vcc, s28, v4
	v_cndmask_b32_e32 v4, v4, v11, vcc
	v_cndmask_b32_e32 v3, v3, v8, vcc
	v_add_u32_e32 v8, 1, v3
	v_cmp_le_u32_e32 vcc, s28, v4
	v_cndmask_b32_e32 v3, v3, v8, vcc
	v_mov_b32_e32 v4, v7
.LBB0_6:                                ;   in Loop: Header=BB0_2 Depth=1
	s_or_b64 exec, exec, s[0:1]
	v_mul_lo_u32 v8, v4, s28
	v_mul_lo_u32 v13, v3, s29
	v_mad_u64_u32 v[11:12], s[0:1], v3, s28, 0
	s_load_dwordx2 s[0:1], s[22:23], 0x0
	s_load_dwordx2 s[28:29], s[6:7], 0x0
	v_add3_u32 v8, v12, v13, v8
	v_sub_co_u32_e32 v9, vcc, v9, v11
	v_subb_co_u32_e32 v8, vcc, v10, v8, vcc
	s_waitcnt lgkmcnt(0)
	v_mul_lo_u32 v10, s0, v8
	v_mul_lo_u32 v11, s1, v9
	v_mad_u64_u32 v[5:6], s[0:1], s0, v9, v[5:6]
	v_mul_lo_u32 v8, s28, v8
	v_mul_lo_u32 v12, s29, v9
	v_mad_u64_u32 v[1:2], s[0:1], s28, v9, v[1:2]
	s_add_u32 s26, s26, 1
	s_addc_u32 s27, s27, 0
	s_add_u32 s6, s6, 8
	v_add3_u32 v2, v12, v2, v8
	s_addc_u32 s7, s7, 0
	v_mov_b32_e32 v8, s14
	s_add_u32 s22, s22, 8
	v_mov_b32_e32 v9, s15
	s_addc_u32 s23, s23, 0
	v_cmp_ge_u64_e32 vcc, s[26:27], v[8:9]
	s_add_u32 s24, s24, 8
	v_add3_u32 v6, v11, v6, v10
	s_addc_u32 s25, s25, 0
	s_cbranch_vccnz .LBB0_9
; %bb.7:                                ;   in Loop: Header=BB0_2 Depth=1
	v_mov_b32_e32 v10, v4
	v_mov_b32_e32 v9, v3
	s_branch .LBB0_2
.LBB0_8:
	v_mov_b32_e32 v1, v5
	v_mov_b32_e32 v3, v9
	;; [unrolled: 1-line block ×4, first 2 shown]
.LBB0_9:
	s_load_dwordx2 s[0:1], s[4:5], 0x28
	s_lshl_b64 s[14:15], s[14:15], 3
	s_add_u32 s4, s18, s14
	s_addc_u32 s5, s19, s15
                                        ; implicit-def: $sgpr18
                                        ; implicit-def: $vgpr8
                                        ; implicit-def: $vgpr9
                                        ; implicit-def: $vgpr10
                                        ; implicit-def: $vgpr12
	s_waitcnt lgkmcnt(0)
	v_cmp_gt_u64_e32 vcc, s[0:1], v[3:4]
	v_cmp_le_u64_e64 s[0:1], s[0:1], v[3:4]
	s_and_saveexec_b64 s[6:7], s[0:1]
	s_xor_b64 s[0:1], exec, s[6:7]
; %bb.10:
	s_mov_b32 s6, 0x3333334
	v_mul_hi_u32 v5, v0, s6
	s_mov_b32 s18, 0
	v_mul_u32_u24_e32 v5, 0x50, v5
	v_sub_u32_e32 v8, v0, v5
	v_add_u32_e32 v9, 0x50, v8
	v_add_u32_e32 v10, 0xa0, v8
	;; [unrolled: 1-line block ×3, first 2 shown]
                                        ; implicit-def: $vgpr0
                                        ; implicit-def: $vgpr5_vgpr6
; %bb.11:
	s_or_saveexec_b64 s[6:7], s[0:1]
	v_mov_b32_e32 v7, s18
	v_mov_b32_e32 v14, s18
	;; [unrolled: 1-line block ×9, first 2 shown]
                                        ; implicit-def: $vgpr15
                                        ; implicit-def: $vgpr18
                                        ; implicit-def: $vgpr26
                                        ; implicit-def: $vgpr13
                                        ; implicit-def: $vgpr33
                                        ; implicit-def: $vgpr19
                                        ; implicit-def: $vgpr25
                                        ; implicit-def: $vgpr11
                                        ; implicit-def: $vgpr35
                                        ; implicit-def: $vgpr22
                                        ; implicit-def: $vgpr31
                                        ; implicit-def: $vgpr17
                                        ; implicit-def: $vgpr34
                                        ; implicit-def: $vgpr20
                                        ; implicit-def: $vgpr27
                                        ; implicit-def: $vgpr16
	s_xor_b64 exec, exec, s[6:7]
	s_cbranch_execz .LBB0_13
; %bb.12:
	s_add_u32 s0, s16, s14
	s_addc_u32 s1, s17, s15
	s_mov_b32 s14, 0x3333334
	v_mul_hi_u32 v7, v0, s14
	s_load_dwordx2 s[0:1], s[0:1], 0x0
	v_lshlrev_b64 v[5:6], 2, v[5:6]
	v_mul_u32_u24_e32 v7, 0x50, v7
	v_sub_u32_e32 v8, v0, v7
	s_waitcnt lgkmcnt(0)
	v_mul_lo_u32 v7, s1, v3
	v_mul_lo_u32 v9, s0, v4
	v_mad_u64_u32 v[12:13], s[0:1], s0, v3, 0
	v_mad_u64_u32 v[10:11], s[14:15], s20, v8, 0
	v_add3_u32 v13, v13, v9, v7
	v_lshlrev_b64 v[12:13], 2, v[12:13]
	v_mov_b32_e32 v0, v11
	v_mad_u64_u32 v[14:15], s[0:1], s21, v8, v[0:1]
	v_mov_b32_e32 v0, s9
	v_add_co_u32_e64 v7, s[0:1], s8, v12
	v_add_u32_e32 v9, 0x50, v8
	v_addc_co_u32_e64 v0, s[0:1], v0, v13, s[0:1]
	v_mad_u64_u32 v[12:13], s[0:1], s20, v9, 0
	v_add_co_u32_e64 v7, s[0:1], v7, v5
	v_mov_b32_e32 v11, v14
	v_addc_co_u32_e64 v20, s[0:1], v0, v6, s[0:1]
	v_mov_b32_e32 v0, v13
	v_lshlrev_b64 v[5:6], 2, v[10:11]
	v_mad_u64_u32 v[13:14], s[0:1], s21, v9, v[0:1]
	v_add_u32_e32 v10, 0xa0, v8
	v_mad_u64_u32 v[14:15], s[0:1], s20, v10, 0
	v_add_co_u32_e64 v5, s[0:1], v7, v5
	v_mov_b32_e32 v0, v15
	v_addc_co_u32_e64 v6, s[0:1], v20, v6, s[0:1]
	v_lshlrev_b64 v[16:17], 2, v[12:13]
	v_mad_u64_u32 v[11:12], s[0:1], s21, v10, v[0:1]
	v_add_u32_e32 v12, 0xf0, v8
	v_mad_u64_u32 v[18:19], s[0:1], s20, v12, 0
	v_add_co_u32_e64 v25, s[0:1], v7, v16
	v_mov_b32_e32 v15, v11
	v_mov_b32_e32 v0, v19
	v_addc_co_u32_e64 v26, s[0:1], v20, v17, s[0:1]
	v_lshlrev_b64 v[13:14], 2, v[14:15]
	v_mad_u64_u32 v[15:16], s[0:1], s21, v12, v[0:1]
	v_add_u32_e32 v11, 0x140, v8
	v_mad_u64_u32 v[16:17], s[0:1], s20, v11, 0
	v_add_co_u32_e64 v30, s[0:1], v7, v13
	v_mov_b32_e32 v19, v15
	;; [unrolled: 8-line block ×3, first 2 shown]
	v_addc_co_u32_e64 v34, s[0:1], v20, v14, s[0:1]
	v_lshlrev_b64 v[13:14], 2, v[16:17]
	v_mad_u64_u32 v[15:16], s[0:1], s21, v11, v[0:1]
	v_add_u32_e32 v11, 0x1e0, v8
	v_mad_u64_u32 v[16:17], s[0:1], s20, v11, 0
	v_add_co_u32_e64 v35, s[0:1], v7, v13
	v_mov_b32_e32 v19, v15
	v_mov_b32_e32 v0, v17
	v_addc_co_u32_e64 v36, s[0:1], v20, v14, s[0:1]
	v_lshlrev_b64 v[13:14], 2, v[18:19]
	v_mad_u64_u32 v[17:18], s[0:1], s21, v11, v[0:1]
	v_add_u32_e32 v11, 0x230, v8
	v_mad_u64_u32 v[18:19], s[0:1], s20, v11, 0
	v_add_co_u32_e64 v37, s[0:1], v7, v13
	v_mov_b32_e32 v0, v19
	v_addc_co_u32_e64 v38, s[0:1], v20, v14, s[0:1]
	v_lshlrev_b64 v[13:14], 2, v[16:17]
	v_mad_u64_u32 v[15:16], s[0:1], s21, v11, v[0:1]
	v_or_b32_e32 v11, 0x280, v8
	v_mad_u64_u32 v[16:17], s[0:1], s20, v11, 0
	v_add_co_u32_e64 v39, s[0:1], v7, v13
	v_mov_b32_e32 v19, v15
	v_mov_b32_e32 v0, v17
	v_addc_co_u32_e64 v40, s[0:1], v20, v14, s[0:1]
	v_lshlrev_b64 v[13:14], 2, v[18:19]
	v_mad_u64_u32 v[17:18], s[0:1], s21, v11, v[0:1]
	v_add_u32_e32 v11, 0x2d0, v8
	v_mad_u64_u32 v[18:19], s[0:1], s20, v11, 0
	v_add_co_u32_e64 v41, s[0:1], v7, v13
	v_mov_b32_e32 v0, v19
	v_addc_co_u32_e64 v42, s[0:1], v20, v14, s[0:1]
	v_lshlrev_b64 v[13:14], 2, v[16:17]
	v_mad_u64_u32 v[15:16], s[0:1], s21, v11, v[0:1]
	v_add_u32_e32 v11, 0x320, v8
	v_mad_u64_u32 v[16:17], s[0:1], s20, v11, 0
	v_add_co_u32_e64 v43, s[0:1], v7, v13
	v_mov_b32_e32 v19, v15
	v_mov_b32_e32 v0, v17
	v_addc_co_u32_e64 v44, s[0:1], v20, v14, s[0:1]
	v_lshlrev_b64 v[13:14], 2, v[18:19]
	v_mad_u64_u32 v[17:18], s[0:1], s21, v11, v[0:1]
	v_add_u32_e32 v11, 0x370, v8
	v_mad_u64_u32 v[18:19], s[0:1], s20, v11, 0
	v_add_co_u32_e64 v45, s[0:1], v7, v13
	v_mov_b32_e32 v0, v19
	v_addc_co_u32_e64 v46, s[0:1], v20, v14, s[0:1]
	v_lshlrev_b64 v[13:14], 2, v[16:17]
	v_mad_u64_u32 v[15:16], s[0:1], s21, v11, v[0:1]
	v_add_u32_e32 v11, 0x3c0, v8
	;; [unrolled: 15-line block ×3, first 2 shown]
	v_mad_u64_u32 v[16:17], s[0:1], s20, v11, 0
	v_add_co_u32_e64 v51, s[0:1], v7, v13
	v_mov_b32_e32 v19, v15
	v_mov_b32_e32 v0, v17
	v_addc_co_u32_e64 v52, s[0:1], v20, v14, s[0:1]
	v_lshlrev_b64 v[13:14], 2, v[18:19]
	v_mad_u64_u32 v[17:18], s[0:1], s21, v11, v[0:1]
	v_add_u32_e32 v11, 0x4b0, v8
	v_mad_u64_u32 v[18:19], s[0:1], s20, v11, 0
	v_add_co_u32_e64 v53, s[0:1], v7, v13
	v_mov_b32_e32 v0, v19
	v_addc_co_u32_e64 v54, s[0:1], v20, v14, s[0:1]
	v_lshlrev_b64 v[13:14], 2, v[16:17]
	v_mad_u64_u32 v[15:16], s[0:1], s21, v11, v[0:1]
	v_add_co_u32_e64 v55, s[0:1], v7, v13
	v_mov_b32_e32 v19, v15
	v_addc_co_u32_e64 v56, s[0:1], v20, v14, s[0:1]
	v_lshlrev_b64 v[13:14], 2, v[18:19]
	v_add_co_u32_e64 v57, s[0:1], v7, v13
	v_addc_co_u32_e64 v58, s[0:1], v20, v14, s[0:1]
	global_load_dword v18, v[43:44], off
	global_load_dword v13, v[45:46], off
	;; [unrolled: 1-line block ×15, first 2 shown]
                                        ; kill: killed $vgpr33 killed $vgpr34
                                        ; kill: killed $vgpr35 killed $vgpr36
                                        ; kill: killed $vgpr5 killed $vgpr6
                                        ; kill: killed $vgpr37 killed $vgpr38
                                        ; kill: killed $vgpr30 killed $vgpr31
                                        ; kill: killed $vgpr51 killed $vgpr52
                                        ; kill: killed $vgpr45 killed $vgpr46
                                        ; kill: killed $vgpr47 killed $vgpr48
                                        ; kill: killed $vgpr49 killed $vgpr50
                                        ; kill: killed $vgpr53 killed $vgpr54
                                        ; kill: killed $vgpr55 killed $vgpr56
                                        ; kill: killed $vgpr57 killed $vgpr58
                                        ; kill: killed $vgpr25 killed $vgpr26
                                        ; kill: killed $vgpr39 killed $vgpr40
                                        ; kill: killed $vgpr43 killed $vgpr44
	s_nop 0
	global_load_dword v30, v[41:42], off
	v_mov_b32_e32 v7, v8
	s_waitcnt vmcnt(15)
	v_lshrrev_b32_e32 v15, 16, v18
	s_waitcnt vmcnt(14)
	v_lshrrev_b32_e32 v26, 16, v13
	;; [unrolled: 2-line block ×8, first 2 shown]
.LBB0_13:
	s_or_b64 exec, exec, s[6:7]
	s_waitcnt vmcnt(7)
	v_sub_f16_e32 v0, v14, v18
	s_waitcnt vmcnt(3)
	v_sub_f16_e32 v18, v32, v22
	v_lshrrev_b32_e32 v22, 16, v28
	v_lshrrev_b32_e32 v36, 16, v32
	v_fma_f16 v6, v32, 2.0, -v18
	v_sub_f16_e32 v32, v22, v33
	v_lshrrev_b32_e32 v39, 16, v21
	v_fma_f16 v38, v22, 2.0, -v32
	s_waitcnt vmcnt(1)
	v_lshrrev_b32_e32 v22, 16, v29
	v_sub_f16_e32 v25, v39, v25
	v_sub_f16_e32 v37, v36, v35
	;; [unrolled: 1-line block ×5, first 2 shown]
	v_lshrrev_b32_e32 v34, 16, v23
	v_sub_f16_e32 v13, v23, v13
	v_lshrrev_b32_e32 v35, 16, v24
	v_sub_f16_e32 v17, v24, v17
	v_sub_f16_e32 v11, v21, v11
	v_fma_f16 v42, v39, 2.0, -v25
	s_waitcnt vmcnt(0)
	v_lshrrev_b32_e32 v39, 16, v30
	v_sub_f16_e32 v16, v30, v16
	v_fma_f16 v28, v28, 2.0, -v19
	v_fma_f16 v29, v29, 2.0, -v20
	v_sub_f16_e32 v26, v34, v26
	v_fma_f16 v23, v23, 2.0, -v13
	v_sub_f16_e32 v31, v35, v31
	v_fma_f16 v24, v24, 2.0, -v17
	v_fma_f16 v21, v21, 2.0, -v11
	v_sub_f16_e32 v27, v39, v27
	v_fma_f16 v30, v30, 2.0, -v16
	v_fma_f16 v22, v22, 2.0, -v33
	;; [unrolled: 1-line block ×5, first 2 shown]
	v_sub_f16_e32 v39, v28, v29
	v_add_f16_e32 v20, v32, v20
	v_sub_f16_e32 v24, v23, v24
	v_sub_f16_e32 v30, v21, v30
	;; [unrolled: 1-line block ×4, first 2 shown]
	v_fma_f16 v22, v28, 2.0, -v39
	v_sub_f16_e32 v28, v19, v33
	v_fma_f16 v29, v32, 2.0, -v20
	v_sub_f16_e32 v32, v34, v35
	;; [unrolled: 2-line block ×3, first 2 shown]
	v_add_f16_e32 v17, v26, v17
	v_sub_f16_e32 v33, v42, v43
	v_fma_f16 v21, v21, 2.0, -v30
	v_sub_f16_e32 v27, v11, v27
	v_add_f16_e32 v16, v25, v16
	s_movk_i32 s0, 0x39a8
	v_fma_f16 v5, v14, 2.0, -v0
	v_fma_f16 v19, v19, 2.0, -v28
	;; [unrolled: 1-line block ×8, first 2 shown]
	s_mov_b32 s1, 0xb9a8
	v_mul_f16_e32 v49, 0x39a8, v28
	v_fma_f16 v28, v28, s0, v44
	v_sub_f16_e32 v42, v23, v21
	v_sub_f16_e32 v6, v5, v6
	v_fma_f16 v0, v0, 2.0, -v44
	v_mul_f16_e32 v50, 0x39a8, v20
	v_fma_f16 v20, v20, s1, v28
	v_sub_f16_e32 v51, v40, v34
	v_fma_f16 v21, v23, 2.0, -v42
	v_fma_f16 v23, v11, s1, v13
	v_fma_f16 v34, v25, s1, v26
	v_fma_f16 v5, v5, 2.0, -v6
	v_mul_f16_e32 v45, 0x39a8, v19
	v_fma_f16 v19, v19, s1, v0
	v_fma_f16 v28, v44, 2.0, -v20
	v_fma_f16 v43, v25, s1, v23
	v_fma_f16 v44, v11, s0, v34
	;; [unrolled: 1-line block ×3, first 2 shown]
	v_sub_f16_e32 v22, v5, v22
	v_mul_f16_e32 v47, 0x39a8, v29
	v_fma_f16 v19, v29, s1, v19
	v_sub_f16_e32 v29, v6, v41
	v_fma_f16 v53, v26, 2.0, -v44
	v_sub_f16_e32 v11, v24, v33
	v_fma_f16 v26, v16, s0, v17
	v_fma_f16 v46, v16, s1, v25
	v_fma_f16 v5, v5, 2.0, -v22
	v_fma_f16 v0, v0, 2.0, -v19
	;; [unrolled: 1-line block ×4, first 2 shown]
	v_add_f16_e32 v13, v32, v30
	v_fma_f16 v23, v24, 2.0, -v11
	v_fma_f16 v48, v27, s0, v26
	v_fma_f16 v54, v31, 2.0, -v46
	s_mov_b32 s14, 0xbb64
	s_mov_b32 s8, 0xb61f
	v_fma_f16 v24, v32, 2.0, -v13
	v_fma_f16 v55, v17, 2.0, -v48
	v_sub_f16_e32 v16, v5, v21
	v_fma_f16 v17, v52, s14, v0
	v_mul_f16_e32 v56, 0x39a8, v23
	v_fma_f16 v21, v23, s1, v6
	v_fma_f16 v23, v54, s8, v28
	;; [unrolled: 1-line block ×5, first 2 shown]
	v_fma_f16 v5, v5, 2.0, -v16
	v_fma_f16 v0, v0, 2.0, -v17
	v_mul_f16_e32 v57, 0x39a8, v24
	v_fma_f16 v6, v6, 2.0, -v21
	v_fma_f16 v24, v28, 2.0, -v23
	s_movk_i32 s9, 0x361f
	v_pack_b32_f16 v6, v6, v24
	s_movk_i32 s15, 0x3b64
	v_pack_b32_f16 v0, v5, v0
	v_lshl_add_u32 v58, v8, 5, 0
	v_fma_f16 v26, v43, s9, v19
	v_mul_f16_e32 v59, 0x39a8, v11
	v_fma_f16 v11, v11, s0, v29
	ds_write2_b32 v58, v0, v6 offset1:1
	v_fma_f16 v0, v46, s15, v20
	v_sub_f16_e32 v25, v22, v51
	v_fma_f16 v26, v44, s14, v26
	v_fma_f16 v11, v13, s1, v11
	v_mul_f16_e32 v60, 0x39a8, v13
	v_fma_f16 v13, v48, s8, v0
	v_fma_f16 v22, v22, 2.0, -v25
	v_fma_f16 v19, v19, 2.0, -v26
	;; [unrolled: 1-line block ×4, first 2 shown]
	v_pack_b32_f16 v0, v24, v0
	v_pack_b32_f16 v5, v22, v19
	ds_write2_b32 v58, v5, v0 offset0:2 offset1:3
	v_pack_b32_f16 v0, v21, v23
	v_pack_b32_f16 v5, v16, v17
	ds_write2_b32 v58, v5, v0 offset0:4 offset1:5
	v_pack_b32_f16 v0, v11, v13
	v_pack_b32_f16 v5, v25, v26
	s_movk_i32 s0, 0xffe2
	ds_write2_b32 v58, v5, v0 offset0:6 offset1:7
	v_mad_i32_i24 v0, v8, s0, v58
	s_load_dwordx2 s[4:5], s[4:5], 0x0
	s_waitcnt lgkmcnt(0)
	s_barrier
	ds_read_u16 v33, v0 offset:672
	ds_read_u16 v29, v0 offset:1184
	ds_read_u16 v31, v0 offset:1024
	ds_read_u16 v34, v0 offset:832
	ds_read_u16 v24, v0 offset:2368
	ds_read_u16 v25, v0 offset:2208
	ds_read_u16 v26, v0 offset:2048
	ds_read_u16 v27, v0 offset:1856
	ds_read_u16 v28, v0 offset:1696
	ds_read_u16 v30, v0 offset:1536
	ds_read_u16 v32, v0 offset:1344
	v_lshl_add_u32 v6, v9, 1, 0
	ds_read_u16 v16, v6
	v_lshl_add_u32 v11, v10, 1, 0
	ds_read_u16 v35, v0 offset:512
	ds_read_u16 v19, v0
	ds_read_u16 v17, v11
	v_mul_i32_i24_e32 v0, 0xffffffe2, v8
	v_cmp_gt_u32_e64 s[0:1], 16, v8
	v_add_u32_e32 v0, v58, v0
	v_lshl_add_u32 v5, v12, 1, 0
                                        ; implicit-def: $vgpr20
                                        ; implicit-def: $vgpr21
                                        ; implicit-def: $vgpr22
                                        ; implicit-def: $vgpr23
	s_and_saveexec_b64 s[6:7], s[0:1]
	s_cbranch_execz .LBB0_15
; %bb.14:
	ds_read_u16 v23, v0 offset:992
	ds_read_u16 v22, v0 offset:1504
	;; [unrolled: 1-line block ×3, first 2 shown]
	ds_read_u16 v13, v5
	ds_read_u16 v20, v0 offset:2528
.LBB0_15:
	s_or_b64 exec, exec, s[6:7]
	v_lshrrev_b32_e32 v12, 16, v14
	v_sub_f16_e32 v14, v12, v15
	v_fma_f16 v12, v12, 2.0, -v14
	v_fma_f16 v15, v36, 2.0, -v37
	v_sub_f16_e32 v15, v12, v15
	v_add_f16_e32 v18, v14, v18
	v_fma_f16 v12, v12, 2.0, -v15
	v_fma_f16 v14, v14, 2.0, -v18
	;; [unrolled: 1-line block ×3, first 2 shown]
	v_sub_f16_e32 v36, v12, v36
	v_sub_f16_e32 v37, v14, v47
	v_fma_f16 v12, v12, 2.0, -v36
	v_add_f16_e32 v37, v45, v37
	v_fma_f16 v40, v40, 2.0, -v51
	v_fma_f16 v14, v14, 2.0, -v37
	v_add_f16_e32 v38, v15, v39
	v_add_f16_e32 v39, v18, v50
	v_sub_f16_e32 v40, v12, v40
	v_fma_f16 v15, v15, 2.0, -v38
	v_add_f16_e32 v39, v49, v39
	v_fma_f16 v41, v12, 2.0, -v40
	v_fma_f16 v12, v53, s14, v14
	v_fma_f16 v18, v18, 2.0, -v39
	v_fma_f16 v45, v52, s9, v12
	v_sub_f16_e32 v12, v15, v57
	v_add_f16_e32 v47, v56, v12
	v_fma_f16 v12, v55, s8, v18
	v_fma_f16 v49, v54, s15, v12
	;; [unrolled: 1-line block ×4, first 2 shown]
	v_add_f16_e32 v12, v38, v60
	v_add_f16_e32 v44, v59, v12
	v_fma_f16 v12, v48, s15, v39
	v_fma_f16 v14, v14, 2.0, -v45
	v_fma_f16 v15, v15, 2.0, -v47
	;; [unrolled: 1-line block ×3, first 2 shown]
	v_add_f16_e32 v42, v36, v42
	v_fma_f16 v12, v46, s9, v12
	v_fma_f16 v36, v36, 2.0, -v42
	v_fma_f16 v37, v37, 2.0, -v43
	;; [unrolled: 1-line block ×4, first 2 shown]
	v_pack_b32_f16 v15, v15, v18
	v_pack_b32_f16 v14, v41, v14
	s_waitcnt lgkmcnt(0)
	s_barrier
	ds_write2_b32 v58, v14, v15 offset1:1
	v_pack_b32_f16 v14, v38, v39
	v_pack_b32_f16 v15, v36, v37
	ds_write2_b32 v58, v15, v14 offset0:2 offset1:3
	v_pack_b32_f16 v14, v47, v49
	v_pack_b32_f16 v15, v40, v45
	ds_write2_b32 v58, v15, v14 offset0:4 offset1:5
	;; [unrolled: 3-line block ×3, first 2 shown]
	s_waitcnt lgkmcnt(0)
	s_barrier
	ds_read_u16 v15, v6
	ds_read_u16 v39, v0 offset:512
	ds_read_u16 v36, v0 offset:672
	;; [unrolled: 1-line block ×6, first 2 shown]
	ds_read_u16 v18, v0
	ds_read_u16 v14, v11
	ds_read_u16 v46, v0 offset:2208
	ds_read_u16 v37, v0 offset:2368
	;; [unrolled: 1-line block ×6, first 2 shown]
                                        ; implicit-def: $vgpr38
                                        ; implicit-def: $vgpr40
                                        ; implicit-def: $vgpr41
                                        ; implicit-def: $vgpr42
	s_and_saveexec_b64 s[6:7], s[0:1]
	s_cbranch_execz .LBB0_17
; %bb.16:
	ds_read_u16 v42, v0 offset:992
	ds_read_u16 v41, v0 offset:1504
	ds_read_u16 v40, v0 offset:2016
	ds_read_u16 v12, v5
	ds_read_u16 v38, v0 offset:2528
.LBB0_17:
	s_or_b64 exec, exec, s[6:7]
	v_lshlrev_b32_e32 v43, 4, v8
	v_and_b32_e32 v43, 0xf0, v43
	global_load_dword v56, v43, s[12:13]
	v_and_b32_e32 v57, 15, v8
	global_load_dword v58, v43, s[12:13] offset:2
	global_load_dword v59, v43, s[12:13] offset:4
	v_lshlrev_b32_e32 v45, 4, v57
	global_load_ushort v51, v45, s[12:13]
	global_load_dword v60, v43, s[12:13] offset:6
	global_load_dword v61, v43, s[12:13] offset:8
	;; [unrolled: 1-line block ×4, first 2 shown]
	global_load_ushort v64, v43, s[12:13] offset:14
	s_movk_i32 s8, 0x3b9c
	s_mov_b32 s15, 0xbb9c
	s_movk_i32 s9, 0x38b4
	s_mov_b32 s16, 0xb8b4
	s_movk_i32 s14, 0x34f2
	s_movk_i32 s6, 0x50
	v_lshrrev_b32_e32 v9, 4, v9
	v_mul_lo_u32 v9, v9, s6
	s_waitcnt vmcnt(0) lgkmcnt(0)
	s_barrier
	v_or_b32_e32 v9, v9, v57
	v_lshrrev_b32_e32 v68, 16, v60
	v_mul_f16_sdwa v43, v39, v56 dst_sel:DWORD dst_unused:UNUSED_PAD src0_sel:DWORD src1_sel:WORD_1
	v_mul_f16_sdwa v55, v35, v56 dst_sel:DWORD dst_unused:UNUSED_PAD src0_sel:DWORD src1_sel:WORD_1
	v_fma_f16 v45, v35, v51, -v43
	v_mul_f16_sdwa v35, v36, v56 dst_sel:DWORD dst_unused:UNUSED_PAD src0_sel:DWORD src1_sel:WORD_1
	v_fma_f16 v43, v39, v51, v55
	v_fma_f16 v39, v33, v51, -v35
	v_mul_f16_sdwa v33, v33, v56 dst_sel:DWORD dst_unused:UNUSED_PAD src0_sel:DWORD src1_sel:WORD_1
	v_fma_f16 v36, v36, v51, v33
	v_mul_f16_sdwa v33, v47, v56 dst_sel:DWORD dst_unused:UNUSED_PAD src0_sel:DWORD src1_sel:WORD_1
	v_lshrrev_b32_e32 v65, 16, v58
	v_mul_f16_sdwa v66, v44, v59 dst_sel:DWORD dst_unused:UNUSED_PAD src0_sel:DWORD src1_sel:WORD_1
	v_fma_f16 v35, v34, v51, -v33
	v_mul_f16_sdwa v33, v34, v56 dst_sel:DWORD dst_unused:UNUSED_PAD src0_sel:DWORD src1_sel:WORD_1
	v_mul_f16_sdwa v67, v31, v59 dst_sel:DWORD dst_unused:UNUSED_PAD src0_sel:DWORD src1_sel:WORD_1
	v_fma_f16 v33, v47, v51, v33
	v_fma_f16 v51, v31, v65, -v66
	v_mul_f16_sdwa v31, v49, v59 dst_sel:DWORD dst_unused:UNUSED_PAD src0_sel:DWORD src1_sel:WORD_1
	v_fma_f16 v47, v44, v65, v67
	v_fma_f16 v44, v29, v65, -v31
	v_mul_f16_sdwa v29, v29, v59 dst_sel:DWORD dst_unused:UNUSED_PAD src0_sel:DWORD src1_sel:WORD_1
	v_fma_f16 v34, v49, v65, v29
	v_mul_f16_sdwa v29, v54, v59 dst_sel:DWORD dst_unused:UNUSED_PAD src0_sel:DWORD src1_sel:WORD_1
	v_mul_f16_sdwa v55, v53, v61 dst_sel:DWORD dst_unused:UNUSED_PAD src0_sel:DWORD src1_sel:WORD_1
	v_fma_f16 v31, v32, v65, -v29
	v_mul_f16_sdwa v29, v32, v59 dst_sel:DWORD dst_unused:UNUSED_PAD src0_sel:DWORD src1_sel:WORD_1
	v_mul_f16_sdwa v69, v30, v61 dst_sel:DWORD dst_unused:UNUSED_PAD src0_sel:DWORD src1_sel:WORD_1
	v_fma_f16 v29, v54, v65, v29
	v_fma_f16 v54, v30, v68, -v55
	v_mul_f16_sdwa v30, v50, v61 dst_sel:DWORD dst_unused:UNUSED_PAD src0_sel:DWORD src1_sel:WORD_1
	v_mul_f16_sdwa v32, v28, v61 dst_sel:DWORD dst_unused:UNUSED_PAD src0_sel:DWORD src1_sel:WORD_1
	v_fma_f16 v49, v28, v68, -v30
	v_mul_f16_sdwa v28, v52, v61 dst_sel:DWORD dst_unused:UNUSED_PAD src0_sel:DWORD src1_sel:WORD_1
	v_fma_f16 v30, v27, v68, -v28
	v_mul_f16_sdwa v27, v27, v61 dst_sel:DWORD dst_unused:UNUSED_PAD src0_sel:DWORD src1_sel:WORD_1
	v_lshrrev_b32_e32 v66, 16, v62
	v_mul_f16_sdwa v65, v48, v63 dst_sel:DWORD dst_unused:UNUSED_PAD src0_sel:DWORD src1_sel:WORD_1
	v_mul_f16_sdwa v67, v26, v63 dst_sel:DWORD dst_unused:UNUSED_PAD src0_sel:DWORD src1_sel:WORD_1
	v_fma_f16 v53, v53, v68, v69
	v_fma_f16 v32, v50, v68, v32
	;; [unrolled: 1-line block ×3, first 2 shown]
	v_mul_f16_sdwa v27, v25, v63 dst_sel:DWORD dst_unused:UNUSED_PAD src0_sel:DWORD src1_sel:WORD_1
	v_mul_f16_sdwa v68, v37, v63 dst_sel:DWORD dst_unused:UNUSED_PAD src0_sel:DWORD src1_sel:WORD_1
	;; [unrolled: 1-line block ×3, first 2 shown]
	v_fma_f16 v55, v26, v66, -v65
	v_mul_f16_sdwa v26, v24, v63 dst_sel:DWORD dst_unused:UNUSED_PAD src0_sel:DWORD src1_sel:WORD_1
	v_fma_f16 v52, v48, v66, v67
	v_fma_f16 v48, v46, v66, v27
	v_mul_f16_e32 v27, v40, v62
	v_fma_f16 v46, v24, v66, -v68
	v_mul_f16_e32 v68, v38, v64
	v_mul_f16_e32 v64, v20, v64
	;; [unrolled: 1-line block ×3, first 2 shown]
	v_fma_f16 v37, v37, v66, v26
	v_fma_f16 v26, v21, v61, -v27
	v_fma_f16 v27, v20, v63, -v68
	v_fma_f16 v20, v38, v63, v64
	v_add_f16_e32 v38, v51, v54
	v_mul_f16_e32 v65, v42, v58
	v_mul_f16_e32 v58, v23, v58
	;; [unrolled: 1-line block ×4, first 2 shown]
	v_fma_f16 v21, v40, v61, v62
	v_sub_f16_e32 v40, v43, v52
	v_fma_f16 v38, v38, -0.5, v19
	v_fma_f16 v50, v25, v66, -v69
	v_fma_f16 v25, v23, v56, -v65
	v_fma_f16 v23, v42, v56, v58
	v_fma_f16 v24, v22, v59, -v67
	v_fma_f16 v22, v41, v59, v60
	v_sub_f16_e32 v41, v47, v53
	v_fma_f16 v42, v40, s8, v38
	v_sub_f16_e32 v56, v45, v51
	v_sub_f16_e32 v58, v55, v54
	v_fma_f16 v38, v40, s15, v38
	v_fma_f16 v42, v41, s9, v42
	v_add_f16_e32 v56, v56, v58
	v_fma_f16 v38, v41, s16, v38
	v_fma_f16 v42, v56, s14, v42
	;; [unrolled: 1-line block ×3, first 2 shown]
	v_add_f16_e32 v56, v45, v55
	v_fma_f16 v56, v56, -0.5, v19
	v_fma_f16 v58, v41, s15, v56
	v_sub_f16_e32 v59, v51, v45
	v_sub_f16_e32 v60, v54, v55
	v_fma_f16 v41, v41, s8, v56
	v_fma_f16 v58, v40, s9, v58
	v_add_f16_e32 v59, v59, v60
	v_fma_f16 v40, v40, s16, v41
	v_fma_f16 v41, v59, s14, v40
	v_add_f16_e32 v40, v44, v49
	v_fma_f16 v40, v40, -0.5, v16
	v_sub_f16_e32 v56, v36, v48
	v_fma_f16 v58, v59, s14, v58
	v_fma_f16 v59, v56, s8, v40
	v_sub_f16_e32 v60, v34, v32
	v_sub_f16_e32 v61, v39, v44
	;; [unrolled: 1-line block ×3, first 2 shown]
	v_fma_f16 v40, v56, s15, v40
	v_fma_f16 v59, v60, s9, v59
	v_add_f16_e32 v61, v61, v62
	v_fma_f16 v40, v60, s16, v40
	v_fma_f16 v59, v61, s14, v59
	;; [unrolled: 1-line block ×3, first 2 shown]
	v_add_f16_e32 v40, v39, v50
	v_fma_f16 v40, v40, -0.5, v16
	v_fma_f16 v62, v60, s15, v40
	v_sub_f16_e32 v63, v44, v39
	v_sub_f16_e32 v64, v49, v50
	v_fma_f16 v40, v60, s8, v40
	v_add_f16_e32 v63, v63, v64
	v_fma_f16 v40, v56, s16, v40
	v_fma_f16 v62, v56, s9, v62
	;; [unrolled: 1-line block ×3, first 2 shown]
	v_add_f16_e32 v40, v31, v30
	v_fma_f16 v40, v40, -0.5, v17
	v_sub_f16_e32 v60, v33, v37
	v_fma_f16 v62, v63, s14, v62
	v_fma_f16 v63, v60, s8, v40
	v_sub_f16_e32 v64, v29, v28
	v_sub_f16_e32 v65, v35, v31
	;; [unrolled: 1-line block ×3, first 2 shown]
	v_fma_f16 v40, v60, s15, v40
	v_fma_f16 v63, v64, s9, v63
	v_add_f16_e32 v65, v65, v66
	v_fma_f16 v40, v64, s16, v40
	v_fma_f16 v63, v65, s14, v63
	;; [unrolled: 1-line block ×3, first 2 shown]
	v_sub_f16_e32 v40, v31, v35
	v_sub_f16_e32 v66, v30, v46
	v_add_f16_e32 v40, v40, v66
	v_add_f16_e32 v66, v35, v46
	v_fma_f16 v66, v66, -0.5, v17
	v_fma_f16 v67, v64, s15, v66
	v_fma_f16 v64, v64, s8, v66
	;; [unrolled: 1-line block ×4, first 2 shown]
	v_add_f16_e32 v19, v19, v45
	v_fma_f16 v66, v40, s14, v66
	v_fma_f16 v60, v40, s14, v60
	v_lshrrev_b32_e32 v40, 4, v8
	v_add_f16_e32 v19, v19, v51
	v_mul_u32_u24_e32 v40, 0x50, v40
	v_add_f16_e32 v19, v19, v54
	v_or_b32_e32 v40, v40, v57
	v_add_f16_e32 v19, v19, v55
	v_lshl_add_u32 v40, v40, 1, 0
	ds_write_b16 v40, v19
	ds_write_b16 v40, v42 offset:32
	ds_write_b16 v40, v58 offset:64
	;; [unrolled: 1-line block ×4, first 2 shown]
	v_lshl_add_u32 v41, v9, 1, 0
	v_lshrrev_b32_e32 v9, 4, v10
	v_mul_lo_u32 v9, v9, s6
	v_add_f16_e32 v16, v16, v39
	v_add_f16_e32 v17, v17, v35
	;; [unrolled: 1-line block ×6, first 2 shown]
	v_or_b32_e32 v9, v9, v57
	v_add_f16_e32 v16, v16, v50
	v_add_f16_e32 v17, v17, v46
	v_lshl_add_u32 v42, v9, 1, 0
	v_lshl_add_u32 v38, v8, 1, 0
	ds_write_b16 v41, v16
	ds_write_b16 v41, v59 offset:32
	ds_write_b16 v41, v62 offset:64
	;; [unrolled: 1-line block ×4, first 2 shown]
	ds_write_b16 v42, v17
	ds_write_b16 v42, v63 offset:32
	ds_write_b16 v42, v66 offset:64
	;; [unrolled: 1-line block ×4, first 2 shown]
	s_and_saveexec_b64 s[6:7], s[0:1]
	s_cbranch_execz .LBB0_19
; %bb.18:
	v_sub_f16_e32 v9, v24, v25
	v_sub_f16_e32 v10, v26, v27
	v_add_f16_e32 v9, v9, v10
	v_add_f16_e32 v10, v25, v27
	v_fma_f16 v10, v10, -0.5, v13
	v_sub_f16_e32 v16, v22, v21
	v_fma_f16 v17, v16, s8, v10
	v_sub_f16_e32 v19, v23, v20
	v_fma_f16 v10, v16, s15, v10
	v_fma_f16 v17, v19, s16, v17
	v_fma_f16 v10, v19, s9, v10
	v_fma_f16 v17, v9, s14, v17
	v_fma_f16 v9, v9, s14, v10
	v_sub_f16_e32 v10, v25, v24
	v_sub_f16_e32 v56, v27, v26
	v_add_f16_e32 v10, v10, v56
	v_add_f16_e32 v56, v24, v26
	v_fma_f16 v56, v56, -0.5, v13
	v_add_f16_e32 v13, v13, v25
	v_add_f16_e32 v13, v13, v24
	v_fma_f16 v57, v19, s15, v56
	v_fma_f16 v19, v19, s8, v56
	v_add_f16_e32 v13, v13, v26
	v_fma_f16 v57, v16, s16, v57
	v_fma_f16 v16, v16, s9, v19
	;; [unrolled: 3-line block ×3, first 2 shown]
	ds_write_b16 v38, v13 offset:2400
	ds_write_b16 v38, v10 offset:2432
	;; [unrolled: 1-line block ×5, first 2 shown]
.LBB0_19:
	s_or_b64 exec, exec, s[6:7]
	v_add_f16_e32 v9, v18, v43
	v_add_f16_e32 v9, v9, v47
	;; [unrolled: 1-line block ×5, first 2 shown]
	v_fma_f16 v9, v9, -0.5, v18
	v_sub_f16_e32 v10, v45, v55
	v_fma_f16 v13, v10, s15, v9
	v_sub_f16_e32 v16, v51, v54
	v_sub_f16_e32 v17, v43, v47
	;; [unrolled: 1-line block ×3, first 2 shown]
	v_fma_f16 v9, v10, s8, v9
	v_add_f16_e32 v17, v17, v19
	v_fma_f16 v9, v16, s9, v9
	v_fma_f16 v51, v17, s14, v9
	v_add_f16_e32 v9, v43, v52
	v_fma_f16 v13, v16, s16, v13
	v_fma_f16 v9, v9, -0.5, v18
	v_fma_f16 v45, v17, s14, v13
	v_fma_f16 v13, v16, s8, v9
	v_sub_f16_e32 v17, v47, v43
	v_sub_f16_e32 v18, v53, v52
	v_fma_f16 v9, v16, s15, v9
	v_add_f16_e32 v17, v17, v18
	v_fma_f16 v9, v10, s9, v9
	v_fma_f16 v47, v17, s14, v9
	v_add_f16_e32 v9, v15, v36
	v_add_f16_e32 v9, v9, v34
	;; [unrolled: 1-line block ×5, first 2 shown]
	v_fma_f16 v13, v10, s16, v13
	v_fma_f16 v9, v9, -0.5, v15
	v_sub_f16_e32 v10, v39, v50
	v_fma_f16 v43, v17, s14, v13
	v_fma_f16 v13, v10, s15, v9
	v_sub_f16_e32 v16, v44, v49
	v_sub_f16_e32 v17, v36, v34
	;; [unrolled: 1-line block ×3, first 2 shown]
	v_fma_f16 v9, v10, s8, v9
	v_add_f16_e32 v17, v17, v18
	v_fma_f16 v9, v16, s9, v9
	v_fma_f16 v44, v17, s14, v9
	v_add_f16_e32 v9, v36, v48
	v_fma_f16 v13, v16, s16, v13
	v_fma_f16 v9, v9, -0.5, v15
	v_fma_f16 v39, v17, s14, v13
	v_fma_f16 v13, v16, s8, v9
	v_sub_f16_e32 v15, v34, v36
	v_sub_f16_e32 v17, v32, v48
	v_fma_f16 v9, v16, s15, v9
	v_add_f16_e32 v15, v15, v17
	v_fma_f16 v9, v10, s9, v9
	v_fma_f16 v48, v15, s14, v9
	v_add_f16_e32 v9, v14, v33
	v_add_f16_e32 v9, v9, v29
	v_add_f16_e32 v9, v9, v28
	v_add_f16_e32 v49, v9, v37
	v_add_f16_e32 v9, v29, v28
	v_fma_f16 v13, v10, s16, v13
	v_fma_f16 v9, v9, -0.5, v14
	v_sub_f16_e32 v10, v35, v46
	v_fma_f16 v36, v15, s14, v13
	v_fma_f16 v13, v10, s15, v9
	v_sub_f16_e32 v15, v31, v30
	v_sub_f16_e32 v16, v33, v29
	;; [unrolled: 1-line block ×3, first 2 shown]
	v_fma_f16 v9, v10, s8, v9
	v_add_f16_e32 v16, v16, v17
	v_fma_f16 v9, v15, s9, v9
	v_fma_f16 v46, v16, s14, v9
	v_add_f16_e32 v9, v33, v37
	v_fma_f16 v13, v15, s16, v13
	v_fma_f16 v9, v9, -0.5, v14
	v_fma_f16 v35, v16, s14, v13
	v_fma_f16 v13, v15, s8, v9
	v_sub_f16_e32 v14, v29, v33
	v_sub_f16_e32 v16, v28, v37
	v_fma_f16 v9, v15, s15, v9
	v_fma_f16 v13, v10, s16, v13
	v_add_f16_e32 v14, v14, v16
	v_fma_f16 v9, v10, s9, v9
	v_fma_f16 v37, v14, s14, v13
	;; [unrolled: 1-line block ×3, first 2 shown]
	s_waitcnt lgkmcnt(0)
	s_barrier
	ds_read_u16 v16, v6
	ds_read_u16 v10, v0 offset:640
	ds_read_u16 v15, v0 offset:800
	;; [unrolled: 1-line block ×5, first 2 shown]
	ds_read_u16 v9, v0
	ds_read_u16 v33, v11
	ds_read_u16 v18, v0 offset:1440
	ds_read_u16 v34, v0 offset:1600
	;; [unrolled: 1-line block ×6, first 2 shown]
	ds_read_u16 v30, v5
	ds_read_u16 v28, v0 offset:2400
	s_waitcnt lgkmcnt(0)
	s_barrier
	ds_write_b16 v40, v56
	ds_write_b16 v40, v45 offset:32
	ds_write_b16 v40, v43 offset:64
	ds_write_b16 v40, v47 offset:96
	ds_write_b16 v40, v51 offset:128
	ds_write_b16 v41, v52
	ds_write_b16 v41, v39 offset:32
	ds_write_b16 v41, v36 offset:64
	ds_write_b16 v41, v48 offset:96
	ds_write_b16 v41, v44 offset:128
	;; [unrolled: 5-line block ×3, first 2 shown]
	s_and_saveexec_b64 s[6:7], s[0:1]
	s_cbranch_execz .LBB0_21
; %bb.20:
	v_add_f16_e32 v36, v22, v21
	v_fma_f16 v36, v36, -0.5, v12
	v_sub_f16_e32 v25, v25, v27
	s_mov_b32 s0, 0xbb9c
	v_fma_f16 v27, v25, s0, v36
	v_sub_f16_e32 v24, v24, v26
	s_mov_b32 s1, 0xb8b4
	s_movk_i32 s9, 0x3b9c
	v_fma_f16 v26, v24, s1, v27
	v_sub_f16_e32 v27, v23, v22
	v_sub_f16_e32 v37, v20, v21
	v_fma_f16 v36, v25, s9, v36
	s_movk_i32 s14, 0x38b4
	v_add_f16_e32 v35, v12, v23
	v_add_f16_e32 v27, v27, v37
	s_movk_i32 s8, 0x34f2
	v_fma_f16 v36, v24, s14, v36
	v_add_f16_e32 v35, v35, v22
	v_fma_f16 v26, v27, s8, v26
	v_fma_f16 v27, v27, s8, v36
	v_add_f16_e32 v36, v23, v20
	v_add_f16_e32 v35, v35, v21
	v_fma_f16 v12, v36, -0.5, v12
	v_add_f16_e32 v35, v35, v20
	v_fma_f16 v36, v24, s9, v12
	v_sub_f16_e32 v22, v22, v23
	v_sub_f16_e32 v20, v21, v20
	v_fma_f16 v12, v24, s0, v12
	v_fma_f16 v36, v25, s1, v36
	v_add_f16_e32 v20, v22, v20
	v_fma_f16 v12, v25, s14, v12
	v_fma_f16 v21, v20, s8, v36
	;; [unrolled: 1-line block ×3, first 2 shown]
	ds_write_b16 v38, v35 offset:2400
	ds_write_b16 v38, v26 offset:2432
	;; [unrolled: 1-line block ×5, first 2 shown]
.LBB0_21:
	s_or_b64 exec, exec, s[6:7]
	s_waitcnt lgkmcnt(0)
	s_barrier
	s_and_saveexec_b64 s[0:1], vcc
	s_cbranch_execz .LBB0_23
; %bb.22:
	v_mul_u32_u24_e32 v8, 15, v8
	v_lshlrev_b32_e32 v8, 2, v8
	global_load_dwordx4 v[20:23], v8, s[12:13] offset:272
	global_load_dwordx4 v[24:27], v8, s[12:13] offset:256
	;; [unrolled: 1-line block ×3, first 2 shown]
	global_load_dwordx3 v[39:41], v8, s[12:13] offset:304
	v_mul_lo_u32 v8, s5, v3
	v_mul_lo_u32 v12, s4, v4
	v_mad_u64_u32 v[3:4], s[0:1], s4, v3, 0
	ds_read_u16 v11, v11
	ds_read_u16 v6, v6
	ds_read_u16 v42, v0 offset:1600
	ds_read_u16 v43, v0 offset:1440
	;; [unrolled: 1-line block ×6, first 2 shown]
	ds_read_u16 v5, v5
	ds_read_u16 v48, v0 offset:2400
	ds_read_u16 v49, v0 offset:2240
	;; [unrolled: 1-line block ×6, first 2 shown]
	ds_read_u16 v0, v0
	s_movk_i32 s4, 0x39a8
	v_add3_u32 v4, v4, v12, v8
	s_mov_b32 s0, 0xb9a8
	s_movk_i32 s1, 0x361f
	s_mov_b32 s5, 0xbb64
	s_mov_b32 s7, 0xb61f
	s_movk_i32 s6, 0x3b64
	v_lshlrev_b64 v[3:4], 2, v[3:4]
	s_waitcnt vmcnt(3) lgkmcnt(11)
	v_mul_f16_sdwa v8, v44, v23 dst_sel:DWORD dst_unused:UNUSED_PAD src0_sel:DWORD src1_sel:WORD_1
	v_mul_f16_sdwa v57, v31, v21 dst_sel:DWORD dst_unused:UNUSED_PAD src0_sel:DWORD src1_sel:WORD_1
	s_waitcnt lgkmcnt(9)
	v_mul_f16_sdwa v61, v46, v21 dst_sel:DWORD dst_unused:UNUSED_PAD src0_sel:DWORD src1_sel:WORD_1
	s_waitcnt vmcnt(0) lgkmcnt(5)
	v_mul_f16_sdwa v62, v49, v40 dst_sel:DWORD dst_unused:UNUSED_PAD src0_sel:DWORD src1_sel:WORD_1
	v_mul_f16_sdwa v63, v6, v24 dst_sel:DWORD dst_unused:UNUSED_PAD src0_sel:DWORD src1_sel:WORD_1
	;; [unrolled: 1-line block ×9, first 2 shown]
	v_fma_f16 v8, v13, v23, -v8
	v_fma_f16 v46, v46, v21, v57
	v_fma_f16 v21, v31, v21, -v61
	v_fma_f16 v31, v32, v40, -v62
	;; [unrolled: 1-line block ×3, first 2 shown]
	v_mul_f16_sdwa v16, v16, v24 dst_sel:DWORD dst_unused:UNUSED_PAD src0_sel:DWORD src1_sel:WORD_1
	v_mul_f16_sdwa v13, v13, v23 dst_sel:DWORD dst_unused:UNUSED_PAD src0_sel:DWORD src1_sel:WORD_1
	;; [unrolled: 1-line block ×4, first 2 shown]
	s_waitcnt lgkmcnt(2)
	v_mul_f16_sdwa v68, v52, v37 dst_sel:DWORD dst_unused:UNUSED_PAD src0_sel:DWORD src1_sel:WORD_1
	v_fma_f16 v33, v33, v25, -v55
	v_fma_f16 v34, v34, v36, -v56
	v_fma_f16 v11, v25, v11, v59
	v_fma_f16 v25, v36, v42, v60
	v_fma_f16 v36, v18, v35, -v64
	v_fma_f16 v55, v30, v26, -v67
	v_mul_f16_sdwa v30, v30, v26 dst_sel:DWORD dst_unused:UNUSED_PAD src0_sel:DWORD src1_sel:WORD_1
	v_fma_f16 v6, v24, v6, v16
	v_mul_f16_sdwa v16, v18, v35 dst_sel:DWORD dst_unused:UNUSED_PAD src0_sel:DWORD src1_sel:WORD_1
	v_mul_f16_sdwa v18, v47, v20 dst_sel:DWORD dst_unused:UNUSED_PAD src0_sel:DWORD src1_sel:WORD_1
	v_fma_f16 v13, v23, v44, v13
	s_waitcnt lgkmcnt(1)
	v_mul_f16_sdwa v23, v53, v27 dst_sel:DWORD dst_unused:UNUSED_PAD src0_sel:DWORD src1_sel:WORD_1
	v_mul_f16_sdwa v65, v15, v20 dst_sel:DWORD dst_unused:UNUSED_PAD src0_sel:DWORD src1_sel:WORD_1
	;; [unrolled: 1-line block ×5, first 2 shown]
	v_fma_f16 v12, v53, v27, v12
	v_fma_f16 v54, v51, v38, v54
	v_fma_f16 v56, v29, v37, -v68
	v_fma_f16 v5, v26, v5, v30
	v_mul_f16_sdwa v26, v29, v37 dst_sel:DWORD dst_unused:UNUSED_PAD src0_sel:DWORD src1_sel:WORD_1
	v_mul_f16_sdwa v29, v45, v22 dst_sel:DWORD dst_unused:UNUSED_PAD src0_sel:DWORD src1_sel:WORD_1
	v_fma_f16 v15, v15, v20, -v18
	v_mul_f16_sdwa v18, v50, v39 dst_sel:DWORD dst_unused:UNUSED_PAD src0_sel:DWORD src1_sel:WORD_1
	v_fma_f16 v10, v10, v27, -v23
	v_mul_f16_sdwa v23, v51, v38 dst_sel:DWORD dst_unused:UNUSED_PAD src0_sel:DWORD src1_sel:WORD_1
	v_fma_f16 v49, v49, v40, v58
	v_fma_f16 v40, v47, v20, v65
	;; [unrolled: 1-line block ×5, first 2 shown]
	v_sub_f16_e32 v8, v9, v8
	v_sub_f16_e32 v54, v12, v54
	;; [unrolled: 1-line block ×4, first 2 shown]
	v_fma_f16 v26, v37, v52, v26
	v_fma_f16 v19, v19, v22, -v29
	v_mul_f16_sdwa v22, v48, v41 dst_sel:DWORD dst_unused:UNUSED_PAD src0_sel:DWORD src1_sel:WORD_1
	v_fma_f16 v16, v35, v43, v16
	v_fma_f16 v17, v17, v39, -v18
	v_fma_f16 v14, v14, v38, -v23
	v_sub_f16_e32 v49, v46, v49
	v_sub_f16_e32 v36, v32, v36
	;; [unrolled: 1-line block ×5, first 2 shown]
	v_add_f16_e32 v61, v25, v31
	v_sub_f16_e32 v26, v5, v26
	v_fma_f16 v22, v28, v41, -v22
	v_sub_f16_e32 v16, v6, v16
	v_sub_f16_e32 v17, v15, v17
	s_waitcnt lgkmcnt(0)
	v_sub_f16_e32 v13, v0, v13
	v_sub_f16_e32 v14, v10, v14
	v_sub_f16_e32 v34, v33, v34
	v_sub_f16_e32 v56, v55, v56
	v_sub_f16_e32 v62, v36, v42
	v_fma_f16 v64, v8, 2.0, -v59
	v_fma_f16 v66, v25, 2.0, -v61
	v_sub_f16_e32 v22, v19, v22
	v_add_f16_e32 v18, v16, v17
	v_add_f16_e32 v23, v14, v13
	v_fma_f16 v8, v9, 2.0, -v8
	v_fma_f16 v9, v10, 2.0, -v14
	;; [unrolled: 1-line block ×9, first 2 shown]
	v_add_f16_e32 v28, v26, v22
	v_fma_f16 v20, v16, 2.0, -v18
	v_fma_f16 v27, v13, 2.0, -v23
	v_sub_f16_e32 v9, v8, v9
	v_sub_f16_e32 v11, v10, v11
	;; [unrolled: 1-line block ×4, first 2 shown]
	v_fma_f16 v6, v6, 2.0, -v16
	v_fma_f16 v16, v40, 2.0, -v42
	;; [unrolled: 1-line block ×9, first 2 shown]
	v_sub_f16_e32 v14, v9, v11
	v_sub_f16_e32 v26, v15, v17
	;; [unrolled: 1-line block ×6, first 2 shown]
	v_fma_f16 v32, v26, s4, v14
	v_add_f16_e32 v22, v16, v19
	v_add_f16_e32 v31, v21, v12
	v_fma_f16 v13, v13, 2.0, -v21
	v_fma_f16 v21, v6, 2.0, -v16
	;; [unrolled: 1-line block ×3, first 2 shown]
	v_fma_f16 v32, v22, s0, v32
	v_sub_f16_e32 v17, v21, v5
	v_fma_f16 v0, v0, 2.0, -v12
	v_fma_f16 v5, v10, 2.0, -v11
	;; [unrolled: 1-line block ×3, first 2 shown]
	v_sub_f16_e32 v10, v0, v5
	v_fma_f16 v5, v25, 2.0, -v15
	v_fma_f16 v25, v14, 2.0, -v32
	;; [unrolled: 1-line block ×4, first 2 shown]
	v_fma_f16 v15, v14, s0, v9
	v_fma_f16 v16, v16, 2.0, -v22
	v_sub_f16_e32 v60, v34, v49
	v_sub_f16_e32 v63, v56, v58
	v_fma_f16 v15, v16, s0, v15
	v_fma_f16 v65, v34, 2.0, -v60
	v_fma_f16 v68, v56, 2.0, -v63
	v_fma_f16 v33, v22, s4, v31
	v_fma_f16 v22, v9, 2.0, -v15
	v_fma_f16 v9, v12, 2.0, -v31
	v_fma_f16 v69, v65, s0, v64
	v_fma_f16 v70, v68, s0, v67
	;; [unrolled: 1-line block ×9, first 2 shown]
	v_fma_f16 v14, v9, 2.0, -v12
	v_fma_f16 v9, v64, 2.0, -v69
	;; [unrolled: 1-line block ×3, first 2 shown]
	v_fma_f16 v37, v30, s1, v69
	v_fma_f16 v35, v65, s4, v35
	v_fma_f16 v33, v26, s4, v33
	v_fma_f16 v26, v16, s5, v9
	v_fma_f16 v20, v20, 2.0, -v24
	v_fma_f16 v29, v24, s5, v37
	v_fma_f16 v37, v24, s1, v35
	;; [unrolled: 1-line block ×7, first 2 shown]
	v_fma_f16 v26, v9, 2.0, -v24
	v_fma_f16 v9, v27, 2.0, -v35
	v_fma_f16 v28, v63, s4, v28
	v_fma_f16 v44, v60, s4, v44
	v_fma_f16 v6, v36, 2.0, -v19
	v_fma_f16 v20, v20, s5, v9
	v_fma_f16 v38, v60, s4, v59
	;; [unrolled: 1-line block ×3, first 2 shown]
	v_sub_f16_e32 v6, v5, v6
	v_fma_f16 v16, v16, s1, v20
	v_fma_f16 v38, v61, s0, v38
	;; [unrolled: 1-line block ×3, first 2 shown]
	v_add_f16_e32 v11, v10, v6
	v_fma_f16 v20, v9, 2.0, -v16
	v_fma_f16 v9, v5, 2.0, -v6
	v_mad_u64_u32 v[5:6], s[0:1], s2, v7, 0
	v_sub_f16_e32 v13, v8, v13
	v_sub_f16_e32 v42, v13, v17
	v_fma_f16 v8, v8, 2.0, -v13
	v_fma_f16 v46, v13, 2.0, -v42
	;; [unrolled: 1-line block ×3, first 2 shown]
	v_sub_f16_e32 v13, v8, v9
	v_fma_f16 v10, v0, 2.0, -v10
	v_mov_b32_e32 v0, v6
	v_fma_f16 v27, v8, 2.0, -v13
	v_mad_u64_u32 v[8:9], s[0:1], s3, v7, v[0:1]
	v_fma_f16 v0, v21, 2.0, -v17
	v_sub_f16_e32 v9, v10, v0
	v_mov_b32_e32 v6, v8
	v_mov_b32_e32 v0, s11
	v_add_co_u32_e32 v8, vcc, s10, v3
	v_add_u32_e32 v17, 0x50, v7
	v_addc_co_u32_e32 v4, vcc, v0, v4, vcc
	v_lshlrev_b64 v[0:1], 2, v[1:2]
	v_mad_u64_u32 v[2:3], s[0:1], s2, v17, 0
	v_add_co_u32_e32 v8, vcc, v8, v0
	v_addc_co_u32_e32 v21, vcc, v4, v1, vcc
	v_lshlrev_b64 v[0:1], 2, v[5:6]
	v_mad_u64_u32 v[3:4], s[0:1], s3, v17, v[3:4]
	v_fma_f16 v10, v10, 2.0, -v9
	v_add_co_u32_e32 v0, vcc, v8, v0
	v_addc_co_u32_e32 v1, vcc, v21, v1, vcc
	v_pack_b32_f16 v4, v27, v10
	global_store_dword v[0:1], v4, off
	v_add_u32_e32 v4, 0xa0, v7
	v_lshlrev_b64 v[0:1], 2, v[2:3]
	v_mad_u64_u32 v[2:3], s[0:1], s2, v4, 0
	v_add_u32_e32 v10, 0xf0, v7
	v_add_co_u32_e32 v0, vcc, v8, v0
	v_mad_u64_u32 v[3:4], s[0:1], s3, v4, v[3:4]
	v_mad_u64_u32 v[4:5], s[0:1], s2, v10, 0
	v_addc_co_u32_e32 v1, vcc, v21, v1, vcc
	v_pack_b32_f16 v6, v26, v20
	global_store_dword v[0:1], v6, off
	v_lshlrev_b64 v[0:1], 2, v[2:3]
	v_mov_b32_e32 v2, v5
	v_mad_u64_u32 v[2:3], s[0:1], s3, v10, v[2:3]
	v_add_co_u32_e32 v0, vcc, v8, v0
	v_addc_co_u32_e32 v1, vcc, v21, v1, vcc
	v_pack_b32_f16 v3, v22, v14
	v_mov_b32_e32 v5, v2
	global_store_dword v[0:1], v3, off
	v_lshlrev_b64 v[0:1], 2, v[4:5]
	v_add_u32_e32 v4, 0x140, v7
	v_mad_u64_u32 v[2:3], s[0:1], s2, v4, 0
	v_fma_f16 v41, v39, s6, v38
	v_fma_f16 v41, v28, s7, v41
	v_fma_f16 v43, v38, 2.0, -v41
	v_fma_f16 v38, v59, 2.0, -v38
	;; [unrolled: 1-line block ×3, first 2 shown]
	v_fma_f16 v48, v39, s7, v38
	v_fma_f16 v18, v18, 2.0, -v28
	v_fma_f16 v23, v23, 2.0, -v44
	v_mad_u64_u32 v[3:4], s[0:1], s3, v4, v[3:4]
	v_add_u32_e32 v10, 0x190, v7
	v_fma_f16 v28, v18, s5, v48
	v_fma_f16 v18, v18, s7, v23
	v_mad_u64_u32 v[4:5], s[0:1], s2, v10, 0
	v_fma_f16 v18, v39, s6, v18
	v_fma_f16 v38, v38, 2.0, -v28
	v_fma_f16 v23, v23, 2.0, -v18
	v_add_co_u32_e32 v0, vcc, v8, v0
	v_addc_co_u32_e32 v1, vcc, v21, v1, vcc
	v_pack_b32_f16 v6, v38, v23
	global_store_dword v[0:1], v6, off
	v_lshlrev_b64 v[0:1], 2, v[2:3]
	v_mov_b32_e32 v2, v5
	v_mad_u64_u32 v[2:3], s[0:1], s3, v10, v[2:3]
	v_add_co_u32_e32 v0, vcc, v8, v0
	v_addc_co_u32_e32 v1, vcc, v21, v1, vcc
	v_pack_b32_f16 v3, v46, v19
	v_mov_b32_e32 v5, v2
	global_store_dword v[0:1], v3, off
	v_lshlrev_b64 v[0:1], 2, v[4:5]
	v_add_u32_e32 v4, 0x1e0, v7
	v_mad_u64_u32 v[2:3], s[0:1], s2, v4, 0
	v_add_u32_e32 v10, 0x230, v7
	v_fma_f16 v37, v30, s6, v37
	v_mad_u64_u32 v[3:4], s[0:1], s3, v4, v[3:4]
	v_mad_u64_u32 v[4:5], s[0:1], s2, v10, 0
	v_fma_f16 v34, v69, 2.0, -v29
	v_fma_f16 v40, v35, 2.0, -v37
	v_add_co_u32_e32 v0, vcc, v8, v0
	v_addc_co_u32_e32 v1, vcc, v21, v1, vcc
	v_pack_b32_f16 v6, v34, v40
	global_store_dword v[0:1], v6, off
	v_lshlrev_b64 v[0:1], 2, v[2:3]
	v_mov_b32_e32 v2, v5
	v_mad_u64_u32 v[2:3], s[0:1], s3, v10, v[2:3]
	v_fma_f16 v36, v31, 2.0, -v33
	v_add_co_u32_e32 v0, vcc, v8, v0
	v_addc_co_u32_e32 v1, vcc, v21, v1, vcc
	v_pack_b32_f16 v3, v25, v36
	v_mov_b32_e32 v5, v2
	global_store_dword v[0:1], v3, off
	v_lshlrev_b64 v[0:1], 2, v[4:5]
	v_or_b32_e32 v4, 0x280, v7
	v_mad_u64_u32 v[2:3], s[0:1], s2, v4, 0
	v_add_u32_e32 v10, 0x2d0, v7
	v_fma_f16 v47, v44, 2.0, -v45
	v_mad_u64_u32 v[3:4], s[0:1], s3, v4, v[3:4]
	v_mad_u64_u32 v[4:5], s[0:1], s2, v10, 0
	v_add_co_u32_e32 v0, vcc, v8, v0
	v_addc_co_u32_e32 v1, vcc, v21, v1, vcc
	v_pack_b32_f16 v6, v43, v47
	global_store_dword v[0:1], v6, off
	v_lshlrev_b64 v[0:1], 2, v[2:3]
	v_mov_b32_e32 v2, v5
	v_mad_u64_u32 v[2:3], s[0:1], s3, v10, v[2:3]
	v_add_co_u32_e32 v0, vcc, v8, v0
	v_addc_co_u32_e32 v1, vcc, v21, v1, vcc
	v_pack_b32_f16 v3, v13, v9
	v_mov_b32_e32 v5, v2
	global_store_dword v[0:1], v3, off
	v_lshlrev_b64 v[0:1], 2, v[4:5]
	v_add_u32_e32 v4, 0x320, v7
	v_mad_u64_u32 v[2:3], s[0:1], s2, v4, 0
	v_add_u32_e32 v9, 0x370, v7
	v_add_co_u32_e32 v0, vcc, v8, v0
	v_mad_u64_u32 v[3:4], s[0:1], s3, v4, v[3:4]
	v_mad_u64_u32 v[4:5], s[0:1], s2, v9, 0
	v_addc_co_u32_e32 v1, vcc, v21, v1, vcc
	v_pack_b32_f16 v6, v24, v16
	global_store_dword v[0:1], v6, off
	v_lshlrev_b64 v[0:1], 2, v[2:3]
	v_mov_b32_e32 v2, v5
	v_mad_u64_u32 v[2:3], s[0:1], s3, v9, v[2:3]
	v_add_co_u32_e32 v0, vcc, v8, v0
	v_addc_co_u32_e32 v1, vcc, v21, v1, vcc
	v_pack_b32_f16 v3, v15, v12
	v_mov_b32_e32 v5, v2
	global_store_dword v[0:1], v3, off
	v_lshlrev_b64 v[0:1], 2, v[4:5]
	v_add_u32_e32 v4, 0x3c0, v7
	v_mad_u64_u32 v[2:3], s[0:1], s2, v4, 0
	v_add_u32_e32 v9, 0x410, v7
	v_add_co_u32_e32 v0, vcc, v8, v0
	v_mad_u64_u32 v[3:4], s[0:1], s3, v4, v[3:4]
	v_mad_u64_u32 v[4:5], s[0:1], s2, v9, 0
	;; [unrolled: 18-line block ×3, first 2 shown]
	v_addc_co_u32_e32 v1, vcc, v21, v1, vcc
	v_pack_b32_f16 v6, v29, v37
	global_store_dword v[0:1], v6, off
	v_lshlrev_b64 v[0:1], 2, v[2:3]
	v_mov_b32_e32 v2, v5
	v_mad_u64_u32 v[2:3], s[0:1], s3, v7, v[2:3]
	v_add_co_u32_e32 v0, vcc, v8, v0
	v_addc_co_u32_e32 v1, vcc, v21, v1, vcc
	v_pack_b32_f16 v3, v32, v33
	v_mov_b32_e32 v5, v2
	global_store_dword v[0:1], v3, off
	v_lshlrev_b64 v[0:1], 2, v[4:5]
	v_pack_b32_f16 v2, v41, v45
	v_add_co_u32_e32 v0, vcc, v8, v0
	v_addc_co_u32_e32 v1, vcc, v21, v1, vcc
	global_store_dword v[0:1], v2, off
.LBB0_23:
	s_endpgm
	.section	.rodata,"a",@progbits
	.p2align	6, 0x0
	.amdhsa_kernel fft_rtc_fwd_len1280_factors_16_5_16_wgs_80_tpt_80_halfLds_half_op_CI_CI_sbrr_dirReg
		.amdhsa_group_segment_fixed_size 0
		.amdhsa_private_segment_fixed_size 0
		.amdhsa_kernarg_size 104
		.amdhsa_user_sgpr_count 6
		.amdhsa_user_sgpr_private_segment_buffer 1
		.amdhsa_user_sgpr_dispatch_ptr 0
		.amdhsa_user_sgpr_queue_ptr 0
		.amdhsa_user_sgpr_kernarg_segment_ptr 1
		.amdhsa_user_sgpr_dispatch_id 0
		.amdhsa_user_sgpr_flat_scratch_init 0
		.amdhsa_user_sgpr_private_segment_size 0
		.amdhsa_uses_dynamic_stack 0
		.amdhsa_system_sgpr_private_segment_wavefront_offset 0
		.amdhsa_system_sgpr_workgroup_id_x 1
		.amdhsa_system_sgpr_workgroup_id_y 0
		.amdhsa_system_sgpr_workgroup_id_z 0
		.amdhsa_system_sgpr_workgroup_info 0
		.amdhsa_system_vgpr_workitem_id 0
		.amdhsa_next_free_vgpr 71
		.amdhsa_next_free_sgpr 32
		.amdhsa_reserve_vcc 1
		.amdhsa_reserve_flat_scratch 0
		.amdhsa_float_round_mode_32 0
		.amdhsa_float_round_mode_16_64 0
		.amdhsa_float_denorm_mode_32 3
		.amdhsa_float_denorm_mode_16_64 3
		.amdhsa_dx10_clamp 1
		.amdhsa_ieee_mode 1
		.amdhsa_fp16_overflow 0
		.amdhsa_exception_fp_ieee_invalid_op 0
		.amdhsa_exception_fp_denorm_src 0
		.amdhsa_exception_fp_ieee_div_zero 0
		.amdhsa_exception_fp_ieee_overflow 0
		.amdhsa_exception_fp_ieee_underflow 0
		.amdhsa_exception_fp_ieee_inexact 0
		.amdhsa_exception_int_div_zero 0
	.end_amdhsa_kernel
	.text
.Lfunc_end0:
	.size	fft_rtc_fwd_len1280_factors_16_5_16_wgs_80_tpt_80_halfLds_half_op_CI_CI_sbrr_dirReg, .Lfunc_end0-fft_rtc_fwd_len1280_factors_16_5_16_wgs_80_tpt_80_halfLds_half_op_CI_CI_sbrr_dirReg
                                        ; -- End function
	.section	.AMDGPU.csdata,"",@progbits
; Kernel info:
; codeLenInByte = 9520
; NumSgprs: 36
; NumVgprs: 71
; ScratchSize: 0
; MemoryBound: 0
; FloatMode: 240
; IeeeMode: 1
; LDSByteSize: 0 bytes/workgroup (compile time only)
; SGPRBlocks: 4
; VGPRBlocks: 17
; NumSGPRsForWavesPerEU: 36
; NumVGPRsForWavesPerEU: 71
; Occupancy: 3
; WaveLimiterHint : 1
; COMPUTE_PGM_RSRC2:SCRATCH_EN: 0
; COMPUTE_PGM_RSRC2:USER_SGPR: 6
; COMPUTE_PGM_RSRC2:TRAP_HANDLER: 0
; COMPUTE_PGM_RSRC2:TGID_X_EN: 1
; COMPUTE_PGM_RSRC2:TGID_Y_EN: 0
; COMPUTE_PGM_RSRC2:TGID_Z_EN: 0
; COMPUTE_PGM_RSRC2:TIDIG_COMP_CNT: 0
	.type	__hip_cuid_fc9289f7afa70c93,@object ; @__hip_cuid_fc9289f7afa70c93
	.section	.bss,"aw",@nobits
	.globl	__hip_cuid_fc9289f7afa70c93
__hip_cuid_fc9289f7afa70c93:
	.byte	0                               ; 0x0
	.size	__hip_cuid_fc9289f7afa70c93, 1

	.ident	"AMD clang version 19.0.0git (https://github.com/RadeonOpenCompute/llvm-project roc-6.4.0 25133 c7fe45cf4b819c5991fe208aaa96edf142730f1d)"
	.section	".note.GNU-stack","",@progbits
	.addrsig
	.addrsig_sym __hip_cuid_fc9289f7afa70c93
	.amdgpu_metadata
---
amdhsa.kernels:
  - .args:
      - .actual_access:  read_only
        .address_space:  global
        .offset:         0
        .size:           8
        .value_kind:     global_buffer
      - .offset:         8
        .size:           8
        .value_kind:     by_value
      - .actual_access:  read_only
        .address_space:  global
        .offset:         16
        .size:           8
        .value_kind:     global_buffer
      - .actual_access:  read_only
        .address_space:  global
        .offset:         24
        .size:           8
        .value_kind:     global_buffer
      - .actual_access:  read_only
        .address_space:  global
        .offset:         32
        .size:           8
        .value_kind:     global_buffer
      - .offset:         40
        .size:           8
        .value_kind:     by_value
      - .actual_access:  read_only
        .address_space:  global
        .offset:         48
        .size:           8
        .value_kind:     global_buffer
      - .actual_access:  read_only
        .address_space:  global
        .offset:         56
        .size:           8
        .value_kind:     global_buffer
      - .offset:         64
        .size:           4
        .value_kind:     by_value
      - .actual_access:  read_only
        .address_space:  global
        .offset:         72
        .size:           8
        .value_kind:     global_buffer
      - .actual_access:  read_only
        .address_space:  global
        .offset:         80
        .size:           8
        .value_kind:     global_buffer
      - .actual_access:  read_only
        .address_space:  global
        .offset:         88
        .size:           8
        .value_kind:     global_buffer
      - .actual_access:  write_only
        .address_space:  global
        .offset:         96
        .size:           8
        .value_kind:     global_buffer
    .group_segment_fixed_size: 0
    .kernarg_segment_align: 8
    .kernarg_segment_size: 104
    .language:       OpenCL C
    .language_version:
      - 2
      - 0
    .max_flat_workgroup_size: 80
    .name:           fft_rtc_fwd_len1280_factors_16_5_16_wgs_80_tpt_80_halfLds_half_op_CI_CI_sbrr_dirReg
    .private_segment_fixed_size: 0
    .sgpr_count:     36
    .sgpr_spill_count: 0
    .symbol:         fft_rtc_fwd_len1280_factors_16_5_16_wgs_80_tpt_80_halfLds_half_op_CI_CI_sbrr_dirReg.kd
    .uniform_work_group_size: 1
    .uses_dynamic_stack: false
    .vgpr_count:     71
    .vgpr_spill_count: 0
    .wavefront_size: 64
amdhsa.target:   amdgcn-amd-amdhsa--gfx906
amdhsa.version:
  - 1
  - 2
...

	.end_amdgpu_metadata
